;; amdgpu-corpus repo=zjin-lcf/HeCBench kind=compiled arch=gfx950 opt=O3
	.amdgcn_target "amdgcn-amd-amdhsa--gfx950"
	.amdhsa_code_object_version 6
	.text
	.protected	_Z7presentiiPKhS0_PhS0_S0_S0_S0_S0_ ; -- Begin function _Z7presentiiPKhS0_PhS0_S0_S0_S0_S0_
	.globl	_Z7presentiiPKhS0_PhS0_S0_S0_S0_S0_
	.p2align	8
	.type	_Z7presentiiPKhS0_PhS0_S0_S0_S0_S0_,@function
_Z7presentiiPKhS0_PhS0_S0_S0_S0_S0_:    ; @_Z7presentiiPKhS0_PhS0_S0_S0_S0_S0_
; %bb.0:
	s_load_dword s3, s[0:1], 0x54
	s_load_dwordx2 s[20:21], s[0:1], 0x0
	s_waitcnt lgkmcnt(0)
	s_and_b32 s3, s3, 0xffff
	s_mul_i32 s2, s2, s3
	v_add_u32_e32 v0, s2, v0
	v_cmp_gt_i32_e32 vcc, s20, v0
	s_and_saveexec_b64 s[2:3], vcc
	s_cbranch_execz .LBB0_7
; %bb.1:
	s_load_dwordx8 s[4:11], s[0:1], 0x8
	v_lshlrev_b32_e32 v2, 3, v0
	v_mul_lo_u32 v0, v0, 10
	v_ashrrev_i32_e32 v3, 31, v2
	v_ashrrev_i32_e32 v1, 31, v0
	s_waitcnt lgkmcnt(0)
	v_lshl_add_u64 v[4:5], s[4:5], 0, v[2:3]
	v_lshl_add_u64 v[0:1], s[6:7], 0, v[0:1]
	global_load_dwordx2 v[22:23], v[4:5], off
	s_nop 0
	global_load_dwordx2 v[4:5], v[0:1], off
	global_load_ushort v20, v[0:1], off offset:8
	s_load_dwordx8 s[12:19], s[0:1], 0x28
	v_mov_b32_e32 v0, 5
	s_movk_i32 s1, 0xff
	v_mov_b32_e32 v1, 0
	v_mov_b32_e32 v27, v1
	v_mov_b32_e32 v13, v1
	v_mov_b32_e32 v15, v1
	v_mov_b32_e32 v17, v1
	v_mov_b32_e32 v19, v1
	v_mov_b32_e32 v9, v1
	s_mov_b32 s0, 0
	v_mov_b32_e32 v7, s0
	v_lshl_add_u64 v[2:3], s[8:9], 0, v[2:3]
	s_cmp_lt_i32 s21, 2
	s_waitcnt vmcnt(1)
	v_lshrrev_b64 v[10:11], 24, v[4:5]
	v_lshrrev_b32_e32 v6, 8, v22
	v_lshrrev_b32_e32 v8, 16, v22
	;; [unrolled: 1-line block ×8, first 2 shown]
	v_xor_b32_e32 v12, v4, v22
	s_waitcnt vmcnt(0)
	v_lshrrev_b16_e32 v14, 3, v20
	v_lshlrev_b16_sdwa v0, v0, v5 dst_sel:DWORD dst_unused:UNUSED_PAD src0_sel:DWORD src1_sel:BYTE_3
	v_bitop3_b32 v26, v5, s1, v23 bitop3:0x48
	v_xor_b32_sdwa v32, v5, v23 dst_sel:DWORD dst_unused:UNUSED_PAD src0_sel:BYTE_3 src1_sel:BYTE_3
	v_xor_b32_sdwa v38, v10, v22 dst_sel:DWORD dst_unused:UNUSED_PAD src0_sel:DWORD src1_sel:BYTE_3
	v_bitop3_b16 v52, v0, v14, 31 bitop3:0xf8
	v_and_b32_e32 v0, 0xff, v12
	v_bitop3_b32 v12, v21, s1, v6 bitop3:0x48
	v_bitop3_b32 v14, v24, s1, v8 bitop3:0x48
	s_waitcnt lgkmcnt(0)
	v_lshl_add_u64 v[22:23], s[18:19], 0, v[26:27]
	v_bitop3_b32 v16, v25, s1, v16 bitop3:0x48
	v_bitop3_b32 v18, v11, s1, v18 bitop3:0x48
	v_lshl_add_u64 v[28:29], s[12:13], 0, v[26:27]
	v_lshl_add_u64 v[30:31], s[14:15], 0, v[26:27]
	;; [unrolled: 1-line block ×3, first 2 shown]
	global_load_ubyte v53, v32, s[12:13]
	global_load_ubyte v54, v32, s[14:15]
	;; [unrolled: 1-line block ×4, first 2 shown]
	v_lshl_add_u64 v[32:33], s[18:19], 0, v[0:1]
	v_lshl_add_u64 v[34:35], s[16:17], 0, v[12:13]
	;; [unrolled: 1-line block ×3, first 2 shown]
	v_and_b32_e32 v8, 0xff, v38
	global_load_ubyte v57, v[22:23], off
	v_lshl_add_u64 v[22:23], s[16:17], 0, v[16:17]
	v_lshl_add_u64 v[38:39], s[14:15], 0, v[18:19]
	;; [unrolled: 1-line block ×4, first 2 shown]
	global_load_ubyte v58, v[28:29], off
	v_lshl_add_u64 v[28:29], s[18:19], 0, v[16:17]
	global_load_ubyte v59, v[30:31], off
	global_load_ubyte v60, v[26:27], off
	v_lshl_add_u64 v[26:27], s[18:19], 0, v[14:15]
	v_lshl_add_u64 v[30:31], s[12:13], 0, v[16:17]
	;; [unrolled: 1-line block ×5, first 2 shown]
	global_load_ubyte v61, v[32:33], off
	global_load_ubyte v62, v[34:35], off
	s_nop 0
	global_load_ubyte v34, v[36:37], off
	global_load_ubyte v35, v[22:23], off
	v_lshl_add_u64 v[22:23], s[18:19], 0, v[18:19]
	global_load_ubyte v36, v[38:39], off
	global_load_ubyte v37, v[40:41], off
	v_lshl_add_u64 v[32:33], s[16:17], 0, v[0:1]
	v_lshl_add_u64 v[16:17], s[14:15], 0, v[16:17]
	;; [unrolled: 1-line block ×3, first 2 shown]
	global_load_ubyte v0, v[44:45], off
	global_load_ubyte v38, v[28:29], off
	;; [unrolled: 1-line block ×7, first 2 shown]
                                        ; kill: killed $vgpr26_vgpr27
                                        ; kill: killed $vgpr22_vgpr23
                                        ; kill: killed $vgpr28_vgpr29
                                        ; kill: killed $vgpr44_vgpr45
                                        ; kill: killed $vgpr46_vgpr47
                                        ; kill: killed $vgpr48_vgpr49
                                        ; kill: killed $vgpr30_vgpr31
	s_nop 0
	global_load_ubyte v26, v[32:33], off
	global_load_ubyte v28, v[14:15], off
	;; [unrolled: 1-line block ×4, first 2 shown]
	v_lshl_add_u64 v[14:15], s[12:13], 0, v[8:9]
	v_lshl_add_u64 v[42:43], s[18:19], 0, v[12:13]
	global_load_ubyte v16, v[14:15], off
	global_load_ubyte v17, v[42:43], off
	v_lshl_add_u64 v[14:15], s[14:15], 0, v[8:9]
	v_lshrrev_b16_e32 v6, 4, v52
	v_lshl_add_u64 v[50:51], s[12:13], 0, v[12:13]
	global_load_ubyte v31, v[14:15], off
	global_load_ubyte v32, v[50:51], off
	v_lshl_add_u64 v[14:15], s[16:17], 0, v[8:9]
	v_lshl_add_u64 v[8:9], s[18:19], 0, v[8:9]
	v_and_b32_e32 v6, 15, v6
	v_lshl_add_u64 v[12:13], s[14:15], 0, v[12:13]
	global_load_ubyte v33, v[14:15], off
	global_load_ubyte v42, v[12:13], off
	v_and_b32_e32 v6, 0xffff, v6
	global_load_ubyte v8, v[8:9], off
	v_lshl_add_u64 v[6:7], s[10:11], 0, v[6:7]
	global_load_ubyte v12, v[6:7], off
	v_lshrrev_b32_e32 v6, 8, v20
	v_lshlrev_b16_e32 v7, 5, v5
	v_lshrrev_b16_e32 v9, 3, v5
	v_lshrrev_b32_e32 v13, 19, v4
	v_lshlrev_b16_e32 v14, 5, v4
	v_lshlrev_b16_e32 v15, 5, v20
	v_lshrrev_b16_e32 v18, 3, v25
	v_lshlrev_b16_e32 v19, 5, v10
	v_lshrrev_b16_e32 v10, 3, v10
	v_lshlrev_b16_e32 v22, 5, v24
	v_lshlrev_b16_e32 v23, 5, v21
	v_lshrrev_b16_e32 v24, 3, v21
	v_lshlrev_b16_e32 v43, 5, v6
	v_lshrrev_b16_e32 v6, 3, v6
	v_lshrrev_b16_e32 v4, 3, v4
	v_bitop3_b16 v27, v7, v18, 31 bitop3:0xf8
	v_bitop3_b16 v20, v19, v9, 31 bitop3:0xf8
	;; [unrolled: 1-line block ×7, first 2 shown]
	s_waitcnt vmcnt(32)
	v_and_b32_e32 v4, 3, v53
	s_waitcnt vmcnt(31)
	v_and_b32_e32 v6, 3, v54
	;; [unrolled: 2-line block ×8, first 2 shown]
	s_waitcnt vmcnt(13)
	v_bitop3_b16 v14, v63, v14, 48 bitop3:0xec
	v_and_b32_e32 v24, 0xc0, v61
	v_and_b32_e32 v43, 48, v62
	;; [unrolled: 1-line block ×3, first 2 shown]
	v_bitop3_b16 v10, v35, v10, 48 bitop3:0xec
	v_and_b32_e32 v35, 12, v36
	v_and_b32_e32 v36, 0xffffffc0, v37
	;; [unrolled: 1-line block ×3, first 2 shown]
	v_bitop3_b16 v0, v38, v13, 48 bitop3:0xec
	v_and_b32_e32 v13, 12, v39
	v_and_b32_e32 v38, 0xffffffc0, v40
	s_waitcnt vmcnt(12)
	v_and_b32_e32 v40, 12, v64
	s_waitcnt vmcnt(11)
	;; [unrolled: 2-line block ×3, first 2 shown]
	v_bitop3_b16 v15, v29, v15, 48 bitop3:0xec
	s_waitcnt vmcnt(8)
	v_and_b32_e32 v29, 12, v30
	v_and_b32_e32 v39, 12, v41
	;; [unrolled: 1-line block ×3, first 2 shown]
	v_bitop3_b16 v30, v43, v34, v24 bitop3:0xfe
	v_bitop3_b16 v10, v10, v4, v35 bitop3:0xfe
	s_waitcnt vmcnt(5)
	v_and_b32_e32 v24, 3, v31
	v_bitop3_b16 v4, v0, v6, v13 bitop3:0xfe
	s_waitcnt vmcnt(4)
	v_bitop3_b16 v13, v32, v38, 48 bitop3:0xec
	s_waitcnt vmcnt(3)
	v_and_b32_e32 v31, 3, v33
	v_bitop3_b16 v6, v14, v7, v40 bitop3:0xfe
	s_waitcnt vmcnt(2)
	v_bitop3_b16 v7, v42, v26, 48 bitop3:0xec
	s_waitcnt vmcnt(1)
	v_and_b32_e32 v14, 3, v8
	v_bitop3_b16 v0, v15, v9, v29 bitop3:0xfe
	v_bitop3_b16 v17, v17, v36, 48 bitop3:0xec
	;; [unrolled: 1-line block ×4, first 2 shown]
	v_lshlrev_b16_e32 v13, 8, v0
	v_bitop3_b16 v9, v17, v24, v37 bitop3:0xfe
	s_waitcnt vmcnt(0)
	v_bitop3_b16 v24, v52, v12, 15 bitop3:0xec
	v_lshlrev_b16_e32 v12, 8, v6
	v_bitop3_b16 v13, v7, v13, s1 bitop3:0xec
	v_bitop3_b16 v12, v8, v12, s1 bitop3:0xec
	v_lshlrev_b32_e32 v13, 16, v13
	v_or_b32_sdwa v13, v12, v13 dst_sel:DWORD dst_unused:UNUSED_PAD src0_sel:WORD_0 src1_sel:DWORD
	v_lshlrev_b16_e32 v12, 8, v4
	v_and_b32_e32 v16, 3, v16
	v_lshlrev_b16_e32 v10, 8, v10
	v_bitop3_b16 v12, v9, v12, s1 bitop3:0xec
	v_bitop3_b16 v10, v30, v10, v16 bitop3:0xfe
	v_lshlrev_b32_e32 v12, 16, v12
	v_or_b32_sdwa v12, v10, v12 dst_sel:DWORD dst_unused:UNUSED_PAD src0_sel:WORD_0 src1_sel:DWORD
	s_mov_b32 s1, 2
	global_store_dwordx2 v[2:3], v[12:13], off
	s_cbranch_scc1 .LBB0_5
; %bb.2:
	global_load_ushort v10, v[2:3], off
	v_lshrrev_b16_e32 v13, 3, v11
	v_lshlrev_b16_e32 v12, 5, v25
	v_and_b32_e32 v13, 31, v13
	s_movk_i32 s2, 0xff80
	v_bitop3_b16 v25, v12, s2, v13 bitop3:0x36
	v_mov_b32_e32 v12, 3
	v_lshrrev_b16_sdwa v5, v12, v5 dst_sel:DWORD dst_unused:UNUSED_PAD src0_sel:DWORD src1_sel:BYTE_3
	v_lshlrev_b16_e32 v11, 5, v11
	v_or_b32_e32 v26, v11, v5
	s_waitcnt vmcnt(0)
	v_lshrrev_b16_e32 v5, 8, v10
.LBB0_3:                                ; =>This Inner Loop Header: Depth=1
	v_xor_b32_e32 v10, v10, v24
	v_xor_b32_e32 v12, v5, v19
	;; [unrolled: 1-line block ×7, first 2 shown]
	v_mov_b32_e32 v5, v1
	v_mov_b32_e32 v9, v1
	;; [unrolled: 1-line block ×5, first 2 shown]
	v_xor_b32_e32 v44, v0, v27
	v_and_b32_e32 v0, 0xff, v10
	v_and_b32_e32 v4, 0xff, v12
	;; [unrolled: 1-line block ×6, first 2 shown]
	v_mov_b32_e32 v17, v1
	v_lshrrev_b16_e32 v60, 3, v25
	v_and_b32_e32 v16, 0xff, v30
	v_lshlrev_b16_e32 v28, 5, v27
	v_lshl_add_u64 v[30:31], s[18:19], 0, v[0:1]
	v_lshl_add_u64 v[32:33], s[16:17], 0, v[4:5]
	;; [unrolled: 1-line block ×6, first 2 shown]
	v_mov_b32_e32 v7, v1
	v_lshl_add_u64 v[42:43], s[14:15], 0, v[16:17]
	v_and_b32_e32 v6, 0xff, v44
	v_lshl_add_u64 v[46:47], s[18:19], 0, v[4:5]
	v_lshl_add_u64 v[48:49], s[16:17], 0, v[8:9]
	;; [unrolled: 1-line block ×5, first 2 shown]
	v_bitop3_b16 v60, v28, v60, 31 bitop3:0xf8
	global_load_ubyte v61, v[30:31], off
	v_lshl_add_u64 v[30:31], s[12:13], 0, v[4:5]
	global_load_ubyte v62, v[32:33], off
	global_load_ubyte v63, v[34:35], off
	v_lshl_add_u64 v[32:33], s[18:19], 0, v[8:9]
	global_load_ubyte v64, v[36:37], off
	;; [unrolled: 3-line block ×3, first 2 shown]
	global_load_ubyte v67, v[42:43], off
	v_lshl_add_u64 v[36:37], s[14:15], 0, v[12:13]
	v_lshl_add_u64 v[38:39], s[12:13], 0, v[14:15]
	;; [unrolled: 1-line block ×8, first 2 shown]
	global_load_ubyte v68, v[46:47], off
	global_load_ubyte v69, v[48:49], off
	s_nop 0
	global_load_ubyte v46, v[50:51], off
	global_load_ubyte v47, v[52:53], off
	;; [unrolled: 1-line block ×4, first 2 shown]
	v_lshl_add_u64 v[42:43], s[16:17], 0, v[0:1]
	v_lshl_add_u64 v[10:11], s[18:19], 0, v[10:11]
	;; [unrolled: 1-line block ×5, first 2 shown]
	global_load_ubyte v0, v[30:31], off
	global_load_ubyte v50, v[32:33], off
	v_lshl_add_u64 v[30:31], s[12:13], 0, v[6:7]
	global_load_ubyte v51, v[34:35], off
	global_load_ubyte v52, v[36:37], off
	v_lshl_add_u64 v[32:33], s[14:15], 0, v[6:7]
	;; [unrolled: 3-line block ×3, first 2 shown]
	global_load_ubyte v38, v[4:5], off
	global_load_ubyte v39, v[8:9], off
	;; [unrolled: 1-line block ×4, first 2 shown]
                                        ; kill: killed $vgpr12_vgpr13
                                        ; kill: killed $vgpr4_vgpr5
                                        ; kill: killed $vgpr8_vgpr9
                                        ; kill: killed $vgpr10_vgpr11
	s_nop 0
	global_load_ubyte v8, v[14:15], off
	global_load_ubyte v9, v[16:17], off
	v_lshl_add_u64 v[4:5], s[18:19], 0, v[6:7]
	v_lshrrev_b16_e32 v6, 4, v60
	global_load_ubyte v7, v[30:31], off
	global_load_ubyte v10, v[44:45], off
	;; [unrolled: 1-line block ×7, first 2 shown]
	v_and_b32_e32 v4, 15, v6
	v_mov_b32_e32 v29, s0
	v_and_b32_e32 v28, 0xffff, v4
	v_lshl_add_u64 v[4:5], s[10:11], 0, v[28:29]
	global_load_ubyte v16, v[4:5], off
	s_lshl_b32 s2, s1, 2
	v_lshlrev_b16_e32 v4, 5, v20
	v_lshrrev_b16_e32 v5, 3, v20
	v_lshlrev_b16_e32 v6, 5, v21
	v_lshrrev_b16_e32 v17, 3, v21
	;; [unrolled: 2-line block ×3, first 2 shown]
	v_lshlrev_b16_e32 v22, 5, v23
	v_lshlrev_b16_e32 v28, 5, v19
	v_lshrrev_b16_e32 v19, 3, v19
	v_lshlrev_b16_e32 v29, 5, v24
	v_lshlrev_b16_e32 v30, 5, v26
	v_lshrrev_b16_e32 v26, 3, v26
	v_lshlrev_b16_e32 v25, 5, v25
	v_xor_b32_e32 v31, s2, v18
	v_lshrrev_b16_e32 v27, 3, v27
	v_lshrrev_b16_e32 v23, 3, v23
	;; [unrolled: 1-line block ×3, first 2 shown]
	v_bitop3_b16 v20, v20, v17, 31 bitop3:0xf8
	v_bitop3_b16 v18, v22, v21, 31 bitop3:0xf8
	;; [unrolled: 1-line block ×5, first 2 shown]
	v_lshlrev_b16_e32 v4, 5, v31
	v_lshrrev_b16_e32 v17, 3, v31
	v_bitop3_b16 v21, v28, v23, 31 bitop3:0xf8
	v_bitop3_b16 v23, v30, v24, 31 bitop3:0xf8
	;; [unrolled: 1-line block ×4, first 2 shown]
	s_add_i32 s1, s1, 1
	s_and_b32 s2, s1, 0xff
	s_cmp_ge_u32 s21, s2
	s_waitcnt vmcnt(32)
	v_and_b32_e32 v4, 0xffffffc0, v61
	s_waitcnt vmcnt(31)
	v_bitop3_b16 v4, v62, v4, 48 bitop3:0xec
	s_waitcnt vmcnt(30)
	v_and_b32_e32 v5, 12, v63
	s_waitcnt vmcnt(29)
	v_and_b32_e32 v6, 3, v64
	;; [unrolled: 2-line block ×3, first 2 shown]
	s_waitcnt vmcnt(27)
	v_bitop3_b16 v17, v66, v17, 48 bitop3:0xec
	s_waitcnt vmcnt(26)
	v_and_b32_e32 v24, 12, v67
	s_waitcnt vmcnt(24)
	v_and_b32_e32 v28, 12, v69
	;; [unrolled: 2-line block ×4, first 2 shown]
	v_bitop3_b16 v30, v48, v30, 48 bitop3:0xec
	v_and_b32_e32 v29, 3, v46
	s_waitcnt vmcnt(18)
	v_and_b32_e32 v32, 12, v50
	s_waitcnt vmcnt(17)
	;; [unrolled: 2-line block ×4, first 2 shown]
	v_and_b32_e32 v7, 3, v7
	v_and_b32_e32 v35, 12, v37
	;; [unrolled: 1-line block ×5, first 2 shown]
	s_waitcnt vmcnt(6)
	v_and_b32_e32 v41, 0xffffffc0, v10
	s_waitcnt vmcnt(5)
	v_and_b32_e32 v11, 3, v11
	;; [unrolled: 2-line block ×4, first 2 shown]
	v_and_b32_e32 v9, 12, v9
	v_bitop3_b16 v34, v36, v34, 48 bitop3:0xec
	v_and_b32_e32 v13, 3, v13
	v_bitop3_b16 v8, v8, v40, 48 bitop3:0xec
	s_waitcnt vmcnt(1)
	v_and_b32_e32 v15, 3, v15
	v_bitop3_b16 v10, v4, v6, v5 bitop3:0xfe
	v_bitop3_b16 v5, v17, v7, v24 bitop3:0xfe
	;; [unrolled: 1-line block ×11, first 2 shown]
	s_waitcnt vmcnt(0)
	v_bitop3_b16 v24, v16, v60, 15 bitop3:0xf8
	s_cbranch_scc1 .LBB0_3
; %bb.4:
	s_mov_b32 s0, 0xc0c0004
	v_perm_b32 v1, v8, v6, s0
	v_perm_b32 v11, v7, v0, s0
	v_lshl_or_b32 v11, v11, 16, v1
	v_perm_b32 v1, v10, v5, s0
	v_perm_b32 v5, v9, v4, s0
	v_lshl_or_b32 v10, v5, 16, v1
	global_store_dwordx2 v[2:3], v[10:11], off
.LBB0_5:
	s_cmp_lg_u32 s21, 31
	s_cbranch_scc1 .LBB0_7
; %bb.6:
	global_load_ushort v5, v[2:3], off
	v_xor_b32_e32 v7, v7, v20
	v_xor_b32_sdwa v0, v0, v27 dst_sel:BYTE_1 dst_unused:UNUSED_PAD src0_sel:DWORD src1_sel:DWORD
	s_movk_i32 s0, 0xff
	v_xor_b32_e32 v8, v8, v21
	v_xor_b32_sdwa v6, v6, v18 dst_sel:BYTE_1 dst_unused:UNUSED_PAD src0_sel:DWORD src1_sel:DWORD
	v_bitop3_b16 v0, v7, v0, s0 bitop3:0xec
	v_xor_b32_e32 v1, v9, v23
	v_xor_b32_sdwa v4, v4, v22 dst_sel:BYTE_1 dst_unused:UNUSED_PAD src0_sel:DWORD src1_sel:DWORD
	v_bitop3_b16 v6, v8, v6, s0 bitop3:0xec
	v_lshlrev_b32_e32 v0, 16, v0
	v_bitop3_b16 v4, v1, v4, s0 bitop3:0xec
	v_or_b32_sdwa v1, v6, v0 dst_sel:DWORD dst_unused:UNUSED_PAD src0_sel:WORD_0 src1_sel:DWORD
	v_lshlrev_b32_e32 v4, 16, v4
	s_waitcnt vmcnt(0)
	v_xor_b32_e32 v0, v5, v24
	v_xor_b32_sdwa v5, v5, v19 dst_sel:BYTE_1 dst_unused:UNUSED_PAD src0_sel:BYTE_1 src1_sel:DWORD
	s_nop 0
	v_bitop3_b16 v0, v0, v5, s0 bitop3:0xec
	v_or_b32_sdwa v0, v0, v4 dst_sel:DWORD dst_unused:UNUSED_PAD src0_sel:WORD_0 src1_sel:DWORD
	global_store_dwordx2 v[2:3], v[0:1], off
.LBB0_7:
	s_endpgm
	.section	.rodata,"a",@progbits
	.p2align	6, 0x0
	.amdhsa_kernel _Z7presentiiPKhS0_PhS0_S0_S0_S0_S0_
		.amdhsa_group_segment_fixed_size 0
		.amdhsa_private_segment_fixed_size 0
		.amdhsa_kernarg_size 328
		.amdhsa_user_sgpr_count 2
		.amdhsa_user_sgpr_dispatch_ptr 0
		.amdhsa_user_sgpr_queue_ptr 0
		.amdhsa_user_sgpr_kernarg_segment_ptr 1
		.amdhsa_user_sgpr_dispatch_id 0
		.amdhsa_user_sgpr_kernarg_preload_length 0
		.amdhsa_user_sgpr_kernarg_preload_offset 0
		.amdhsa_user_sgpr_private_segment_size 0
		.amdhsa_uses_dynamic_stack 0
		.amdhsa_enable_private_segment 0
		.amdhsa_system_sgpr_workgroup_id_x 1
		.amdhsa_system_sgpr_workgroup_id_y 0
		.amdhsa_system_sgpr_workgroup_id_z 0
		.amdhsa_system_sgpr_workgroup_info 0
		.amdhsa_system_vgpr_workitem_id 0
		.amdhsa_next_free_vgpr 70
		.amdhsa_next_free_sgpr 22
		.amdhsa_accum_offset 72
		.amdhsa_reserve_vcc 1
		.amdhsa_float_round_mode_32 0
		.amdhsa_float_round_mode_16_64 0
		.amdhsa_float_denorm_mode_32 3
		.amdhsa_float_denorm_mode_16_64 3
		.amdhsa_dx10_clamp 1
		.amdhsa_ieee_mode 1
		.amdhsa_fp16_overflow 0
		.amdhsa_tg_split 0
		.amdhsa_exception_fp_ieee_invalid_op 0
		.amdhsa_exception_fp_denorm_src 0
		.amdhsa_exception_fp_ieee_div_zero 0
		.amdhsa_exception_fp_ieee_overflow 0
		.amdhsa_exception_fp_ieee_underflow 0
		.amdhsa_exception_fp_ieee_inexact 0
		.amdhsa_exception_int_div_zero 0
	.end_amdhsa_kernel
	.text
.Lfunc_end0:
	.size	_Z7presentiiPKhS0_PhS0_S0_S0_S0_S0_, .Lfunc_end0-_Z7presentiiPKhS0_PhS0_S0_S0_S0_S0_
                                        ; -- End function
	.set _Z7presentiiPKhS0_PhS0_S0_S0_S0_S0_.num_vgpr, 70
	.set _Z7presentiiPKhS0_PhS0_S0_S0_S0_S0_.num_agpr, 0
	.set _Z7presentiiPKhS0_PhS0_S0_S0_S0_S0_.numbered_sgpr, 22
	.set _Z7presentiiPKhS0_PhS0_S0_S0_S0_S0_.num_named_barrier, 0
	.set _Z7presentiiPKhS0_PhS0_S0_S0_S0_S0_.private_seg_size, 0
	.set _Z7presentiiPKhS0_PhS0_S0_S0_S0_S0_.uses_vcc, 1
	.set _Z7presentiiPKhS0_PhS0_S0_S0_S0_S0_.uses_flat_scratch, 0
	.set _Z7presentiiPKhS0_PhS0_S0_S0_S0_S0_.has_dyn_sized_stack, 0
	.set _Z7presentiiPKhS0_PhS0_S0_S0_S0_S0_.has_recursion, 0
	.set _Z7presentiiPKhS0_PhS0_S0_S0_S0_S0_.has_indirect_call, 0
	.section	.AMDGPU.csdata,"",@progbits
; Kernel info:
; codeLenInByte = 2876
; TotalNumSgprs: 28
; NumVgprs: 70
; NumAgprs: 0
; TotalNumVgprs: 70
; ScratchSize: 0
; MemoryBound: 0
; FloatMode: 240
; IeeeMode: 1
; LDSByteSize: 0 bytes/workgroup (compile time only)
; SGPRBlocks: 3
; VGPRBlocks: 8
; NumSGPRsForWavesPerEU: 28
; NumVGPRsForWavesPerEU: 70
; AccumOffset: 72
; Occupancy: 7
; WaveLimiterHint : 1
; COMPUTE_PGM_RSRC2:SCRATCH_EN: 0
; COMPUTE_PGM_RSRC2:USER_SGPR: 2
; COMPUTE_PGM_RSRC2:TRAP_HANDLER: 0
; COMPUTE_PGM_RSRC2:TGID_X_EN: 1
; COMPUTE_PGM_RSRC2:TGID_Y_EN: 0
; COMPUTE_PGM_RSRC2:TGID_Z_EN: 0
; COMPUTE_PGM_RSRC2:TIDIG_COMP_CNT: 0
; COMPUTE_PGM_RSRC3_GFX90A:ACCUM_OFFSET: 17
; COMPUTE_PGM_RSRC3_GFX90A:TG_SPLIT: 0
	.text
	.p2alignl 6, 3212836864
	.fill 256, 4, 3212836864
	.section	.AMDGPU.gpr_maximums,"",@progbits
	.set amdgpu.max_num_vgpr, 0
	.set amdgpu.max_num_agpr, 0
	.set amdgpu.max_num_sgpr, 0
	.text
	.type	__hip_cuid_4e8ef6a8d28c0f00,@object ; @__hip_cuid_4e8ef6a8d28c0f00
	.section	.bss,"aw",@nobits
	.globl	__hip_cuid_4e8ef6a8d28c0f00
__hip_cuid_4e8ef6a8d28c0f00:
	.byte	0                               ; 0x0
	.size	__hip_cuid_4e8ef6a8d28c0f00, 1

	.ident	"AMD clang version 22.0.0git (https://github.com/RadeonOpenCompute/llvm-project roc-7.2.4 26084 f58b06dce1f9c15707c5f808fd002e18c2accf7e)"
	.section	".note.GNU-stack","",@progbits
	.addrsig
	.addrsig_sym __hip_cuid_4e8ef6a8d28c0f00
	.amdgpu_metadata
---
amdhsa.kernels:
  - .agpr_count:     0
    .args:
      - .offset:         0
        .size:           4
        .value_kind:     by_value
      - .offset:         4
        .size:           4
        .value_kind:     by_value
      - .actual_access:  read_only
        .address_space:  global
        .offset:         8
        .size:           8
        .value_kind:     global_buffer
      - .actual_access:  read_only
        .address_space:  global
        .offset:         16
        .size:           8
        .value_kind:     global_buffer
      - .address_space:  global
        .offset:         24
        .size:           8
        .value_kind:     global_buffer
      - .actual_access:  read_only
        .address_space:  global
        .offset:         32
        .size:           8
        .value_kind:     global_buffer
      - .actual_access:  read_only
        .address_space:  global
        .offset:         40
        .size:           8
        .value_kind:     global_buffer
      - .actual_access:  read_only
        .address_space:  global
        .offset:         48
        .size:           8
        .value_kind:     global_buffer
      - .actual_access:  read_only
        .address_space:  global
        .offset:         56
        .size:           8
        .value_kind:     global_buffer
      - .actual_access:  read_only
        .address_space:  global
        .offset:         64
        .size:           8
        .value_kind:     global_buffer
      - .offset:         72
        .size:           4
        .value_kind:     hidden_block_count_x
      - .offset:         76
        .size:           4
        .value_kind:     hidden_block_count_y
      - .offset:         80
        .size:           4
        .value_kind:     hidden_block_count_z
      - .offset:         84
        .size:           2
        .value_kind:     hidden_group_size_x
      - .offset:         86
        .size:           2
        .value_kind:     hidden_group_size_y
      - .offset:         88
        .size:           2
        .value_kind:     hidden_group_size_z
      - .offset:         90
        .size:           2
        .value_kind:     hidden_remainder_x
      - .offset:         92
        .size:           2
        .value_kind:     hidden_remainder_y
      - .offset:         94
        .size:           2
        .value_kind:     hidden_remainder_z
      - .offset:         112
        .size:           8
        .value_kind:     hidden_global_offset_x
      - .offset:         120
        .size:           8
        .value_kind:     hidden_global_offset_y
      - .offset:         128
        .size:           8
        .value_kind:     hidden_global_offset_z
      - .offset:         136
        .size:           2
        .value_kind:     hidden_grid_dims
    .group_segment_fixed_size: 0
    .kernarg_segment_align: 8
    .kernarg_segment_size: 328
    .language:       OpenCL C
    .language_version:
      - 2
      - 0
    .max_flat_workgroup_size: 1024
    .name:           _Z7presentiiPKhS0_PhS0_S0_S0_S0_S0_
    .private_segment_fixed_size: 0
    .sgpr_count:     28
    .sgpr_spill_count: 0
    .symbol:         _Z7presentiiPKhS0_PhS0_S0_S0_S0_S0_.kd
    .uniform_work_group_size: 1
    .uses_dynamic_stack: false
    .vgpr_count:     70
    .vgpr_spill_count: 0
    .wavefront_size: 64
amdhsa.target:   amdgcn-amd-amdhsa--gfx950
amdhsa.version:
  - 1
  - 2
...

	.end_amdgpu_metadata
